;; amdgpu-corpus repo=ROCm/rocFFT kind=compiled arch=gfx1030 opt=O3
	.text
	.amdgcn_target "amdgcn-amd-amdhsa--gfx1030"
	.amdhsa_code_object_version 6
	.protected	fft_rtc_back_len1944_factors_3_3_3_3_8_3_wgs_243_tpt_243_halfLds_dp_ip_CI_unitstride_sbrr_R2C_dirReg ; -- Begin function fft_rtc_back_len1944_factors_3_3_3_3_8_3_wgs_243_tpt_243_halfLds_dp_ip_CI_unitstride_sbrr_R2C_dirReg
	.globl	fft_rtc_back_len1944_factors_3_3_3_3_8_3_wgs_243_tpt_243_halfLds_dp_ip_CI_unitstride_sbrr_R2C_dirReg
	.p2align	8
	.type	fft_rtc_back_len1944_factors_3_3_3_3_8_3_wgs_243_tpt_243_halfLds_dp_ip_CI_unitstride_sbrr_R2C_dirReg,@function
fft_rtc_back_len1944_factors_3_3_3_3_8_3_wgs_243_tpt_243_halfLds_dp_ip_CI_unitstride_sbrr_R2C_dirReg: ; @fft_rtc_back_len1944_factors_3_3_3_3_8_3_wgs_243_tpt_243_halfLds_dp_ip_CI_unitstride_sbrr_R2C_dirReg
; %bb.0:
	s_clause 0x2
	s_load_dwordx4 s[8:11], s[4:5], 0x0
	s_load_dwordx2 s[2:3], s[4:5], 0x50
	s_load_dwordx2 s[12:13], s[4:5], 0x18
	v_mul_u32_u24_e32 v1, 0x10e, v0
	v_mov_b32_e32 v3, 0
	v_add_nc_u32_sdwa v5, s6, v1 dst_sel:DWORD dst_unused:UNUSED_PAD src0_sel:DWORD src1_sel:WORD_1
	v_mov_b32_e32 v1, 0
	v_mov_b32_e32 v6, v3
	v_mov_b32_e32 v2, 0
	s_waitcnt lgkmcnt(0)
	v_cmp_lt_u64_e64 s0, s[10:11], 2
	s_and_b32 vcc_lo, exec_lo, s0
	s_cbranch_vccnz .LBB0_8
; %bb.1:
	s_load_dwordx2 s[0:1], s[4:5], 0x10
	v_mov_b32_e32 v1, 0
	s_add_u32 s6, s12, 8
	v_mov_b32_e32 v2, 0
	s_addc_u32 s7, s13, 0
	s_mov_b64 s[16:17], 1
	s_waitcnt lgkmcnt(0)
	s_add_u32 s14, s0, 8
	s_addc_u32 s15, s1, 0
.LBB0_2:                                ; =>This Inner Loop Header: Depth=1
	s_load_dwordx2 s[18:19], s[14:15], 0x0
                                        ; implicit-def: $vgpr7_vgpr8
	s_mov_b32 s0, exec_lo
	s_waitcnt lgkmcnt(0)
	v_or_b32_e32 v4, s19, v6
	v_cmpx_ne_u64_e32 0, v[3:4]
	s_xor_b32 s1, exec_lo, s0
	s_cbranch_execz .LBB0_4
; %bb.3:                                ;   in Loop: Header=BB0_2 Depth=1
	v_cvt_f32_u32_e32 v4, s18
	v_cvt_f32_u32_e32 v7, s19
	s_sub_u32 s0, 0, s18
	s_subb_u32 s20, 0, s19
	v_fmac_f32_e32 v4, 0x4f800000, v7
	v_rcp_f32_e32 v4, v4
	v_mul_f32_e32 v4, 0x5f7ffffc, v4
	v_mul_f32_e32 v7, 0x2f800000, v4
	v_trunc_f32_e32 v7, v7
	v_fmac_f32_e32 v4, 0xcf800000, v7
	v_cvt_u32_f32_e32 v7, v7
	v_cvt_u32_f32_e32 v4, v4
	v_mul_lo_u32 v8, s0, v7
	v_mul_hi_u32 v9, s0, v4
	v_mul_lo_u32 v10, s20, v4
	v_add_nc_u32_e32 v8, v9, v8
	v_mul_lo_u32 v9, s0, v4
	v_add_nc_u32_e32 v8, v8, v10
	v_mul_hi_u32 v10, v4, v9
	v_mul_lo_u32 v11, v4, v8
	v_mul_hi_u32 v12, v4, v8
	v_mul_hi_u32 v13, v7, v9
	v_mul_lo_u32 v9, v7, v9
	v_mul_hi_u32 v14, v7, v8
	v_mul_lo_u32 v8, v7, v8
	v_add_co_u32 v10, vcc_lo, v10, v11
	v_add_co_ci_u32_e32 v11, vcc_lo, 0, v12, vcc_lo
	v_add_co_u32 v9, vcc_lo, v10, v9
	v_add_co_ci_u32_e32 v9, vcc_lo, v11, v13, vcc_lo
	v_add_co_ci_u32_e32 v10, vcc_lo, 0, v14, vcc_lo
	v_add_co_u32 v8, vcc_lo, v9, v8
	v_add_co_ci_u32_e32 v9, vcc_lo, 0, v10, vcc_lo
	v_add_co_u32 v4, vcc_lo, v4, v8
	v_add_co_ci_u32_e32 v7, vcc_lo, v7, v9, vcc_lo
	v_mul_hi_u32 v8, s0, v4
	v_mul_lo_u32 v10, s20, v4
	v_mul_lo_u32 v9, s0, v7
	v_add_nc_u32_e32 v8, v8, v9
	v_mul_lo_u32 v9, s0, v4
	v_add_nc_u32_e32 v8, v8, v10
	v_mul_hi_u32 v10, v4, v9
	v_mul_lo_u32 v11, v4, v8
	v_mul_hi_u32 v12, v4, v8
	v_mul_hi_u32 v13, v7, v9
	v_mul_lo_u32 v9, v7, v9
	v_mul_hi_u32 v14, v7, v8
	v_mul_lo_u32 v8, v7, v8
	v_add_co_u32 v10, vcc_lo, v10, v11
	v_add_co_ci_u32_e32 v11, vcc_lo, 0, v12, vcc_lo
	v_add_co_u32 v9, vcc_lo, v10, v9
	v_add_co_ci_u32_e32 v9, vcc_lo, v11, v13, vcc_lo
	v_add_co_ci_u32_e32 v10, vcc_lo, 0, v14, vcc_lo
	v_add_co_u32 v8, vcc_lo, v9, v8
	v_add_co_ci_u32_e32 v9, vcc_lo, 0, v10, vcc_lo
	v_add_co_u32 v4, vcc_lo, v4, v8
	v_add_co_ci_u32_e32 v11, vcc_lo, v7, v9, vcc_lo
	v_mul_hi_u32 v13, v5, v4
	v_mad_u64_u32 v[9:10], null, v6, v4, 0
	v_mad_u64_u32 v[7:8], null, v5, v11, 0
	;; [unrolled: 1-line block ×3, first 2 shown]
	v_add_co_u32 v4, vcc_lo, v13, v7
	v_add_co_ci_u32_e32 v7, vcc_lo, 0, v8, vcc_lo
	v_add_co_u32 v4, vcc_lo, v4, v9
	v_add_co_ci_u32_e32 v4, vcc_lo, v7, v10, vcc_lo
	v_add_co_ci_u32_e32 v7, vcc_lo, 0, v12, vcc_lo
	v_add_co_u32 v4, vcc_lo, v4, v11
	v_add_co_ci_u32_e32 v9, vcc_lo, 0, v7, vcc_lo
	v_mul_lo_u32 v10, s19, v4
	v_mad_u64_u32 v[7:8], null, s18, v4, 0
	v_mul_lo_u32 v11, s18, v9
	v_sub_co_u32 v7, vcc_lo, v5, v7
	v_add3_u32 v8, v8, v11, v10
	v_sub_nc_u32_e32 v10, v6, v8
	v_subrev_co_ci_u32_e64 v10, s0, s19, v10, vcc_lo
	v_add_co_u32 v11, s0, v4, 2
	v_add_co_ci_u32_e64 v12, s0, 0, v9, s0
	v_sub_co_u32 v13, s0, v7, s18
	v_sub_co_ci_u32_e32 v8, vcc_lo, v6, v8, vcc_lo
	v_subrev_co_ci_u32_e64 v10, s0, 0, v10, s0
	v_cmp_le_u32_e32 vcc_lo, s18, v13
	v_cmp_eq_u32_e64 s0, s19, v8
	v_cndmask_b32_e64 v13, 0, -1, vcc_lo
	v_cmp_le_u32_e32 vcc_lo, s19, v10
	v_cndmask_b32_e64 v14, 0, -1, vcc_lo
	v_cmp_le_u32_e32 vcc_lo, s18, v7
	;; [unrolled: 2-line block ×3, first 2 shown]
	v_cndmask_b32_e64 v15, 0, -1, vcc_lo
	v_cmp_eq_u32_e32 vcc_lo, s19, v10
	v_cndmask_b32_e64 v7, v15, v7, s0
	v_cndmask_b32_e32 v10, v14, v13, vcc_lo
	v_add_co_u32 v13, vcc_lo, v4, 1
	v_add_co_ci_u32_e32 v14, vcc_lo, 0, v9, vcc_lo
	v_cmp_ne_u32_e32 vcc_lo, 0, v10
	v_cndmask_b32_e32 v8, v14, v12, vcc_lo
	v_cndmask_b32_e32 v10, v13, v11, vcc_lo
	v_cmp_ne_u32_e32 vcc_lo, 0, v7
	v_cndmask_b32_e32 v8, v9, v8, vcc_lo
	v_cndmask_b32_e32 v7, v4, v10, vcc_lo
.LBB0_4:                                ;   in Loop: Header=BB0_2 Depth=1
	s_andn2_saveexec_b32 s0, s1
	s_cbranch_execz .LBB0_6
; %bb.5:                                ;   in Loop: Header=BB0_2 Depth=1
	v_cvt_f32_u32_e32 v4, s18
	s_sub_i32 s1, 0, s18
	v_rcp_iflag_f32_e32 v4, v4
	v_mul_f32_e32 v4, 0x4f7ffffe, v4
	v_cvt_u32_f32_e32 v4, v4
	v_mul_lo_u32 v7, s1, v4
	v_mul_hi_u32 v7, v4, v7
	v_add_nc_u32_e32 v4, v4, v7
	v_mul_hi_u32 v4, v5, v4
	v_mul_lo_u32 v7, v4, s18
	v_add_nc_u32_e32 v8, 1, v4
	v_sub_nc_u32_e32 v7, v5, v7
	v_subrev_nc_u32_e32 v9, s18, v7
	v_cmp_le_u32_e32 vcc_lo, s18, v7
	v_cndmask_b32_e32 v7, v7, v9, vcc_lo
	v_cndmask_b32_e32 v4, v4, v8, vcc_lo
	v_cmp_le_u32_e32 vcc_lo, s18, v7
	v_add_nc_u32_e32 v8, 1, v4
	v_cndmask_b32_e32 v7, v4, v8, vcc_lo
	v_mov_b32_e32 v8, v3
.LBB0_6:                                ;   in Loop: Header=BB0_2 Depth=1
	s_or_b32 exec_lo, exec_lo, s0
	s_load_dwordx2 s[0:1], s[6:7], 0x0
	v_mul_lo_u32 v4, v8, s18
	v_mul_lo_u32 v11, v7, s19
	v_mad_u64_u32 v[9:10], null, v7, s18, 0
	s_add_u32 s16, s16, 1
	s_addc_u32 s17, s17, 0
	s_add_u32 s6, s6, 8
	s_addc_u32 s7, s7, 0
	;; [unrolled: 2-line block ×3, first 2 shown]
	v_add3_u32 v4, v10, v11, v4
	v_sub_co_u32 v5, vcc_lo, v5, v9
	v_sub_co_ci_u32_e32 v4, vcc_lo, v6, v4, vcc_lo
	s_waitcnt lgkmcnt(0)
	v_mul_lo_u32 v6, s1, v5
	v_mul_lo_u32 v4, s0, v4
	v_mad_u64_u32 v[1:2], null, s0, v5, v[1:2]
	v_cmp_ge_u64_e64 s0, s[16:17], s[10:11]
	s_and_b32 vcc_lo, exec_lo, s0
	v_add3_u32 v2, v6, v2, v4
	s_cbranch_vccnz .LBB0_9
; %bb.7:                                ;   in Loop: Header=BB0_2 Depth=1
	v_mov_b32_e32 v5, v7
	v_mov_b32_e32 v6, v8
	s_branch .LBB0_2
.LBB0_8:
	v_mov_b32_e32 v8, v6
	v_mov_b32_e32 v7, v5
.LBB0_9:
	s_lshl_b64 s[0:1], s[10:11], 3
	v_mul_hi_u32 v3, 0x10db20b, v0
	s_add_u32 s0, s12, s0
	s_addc_u32 s1, s13, s1
	s_load_dwordx2 s[0:1], s[0:1], 0x0
	s_load_dwordx2 s[4:5], s[4:5], 0x20
	v_mul_u32_u24_e32 v3, 0xf3, v3
	v_sub_nc_u32_e32 v36, v0, v3
	v_add_nc_u32_e32 v38, 0xf3, v36
	v_add_nc_u32_e32 v42, 0x1e6, v36
	s_waitcnt lgkmcnt(0)
	v_mul_lo_u32 v4, s0, v8
	v_mul_lo_u32 v5, s1, v7
	v_mad_u64_u32 v[1:2], null, s0, v7, v[1:2]
	v_cmp_gt_u64_e32 vcc_lo, s[4:5], v[7:8]
	v_cmp_le_u64_e64 s0, s[4:5], v[7:8]
	v_add3_u32 v2, v5, v2, v4
	s_and_saveexec_b32 s1, s0
	s_xor_b32 s0, exec_lo, s1
; %bb.10:
	v_add_nc_u32_e32 v38, 0xf3, v36
	v_add_nc_u32_e32 v42, 0x1e6, v36
; %bb.11:
	s_or_saveexec_b32 s1, s0
	v_lshlrev_b64 v[40:41], 4, v[1:2]
	v_lshl_add_u32 v45, v36, 4, 0
	s_xor_b32 exec_lo, exec_lo, s1
	s_cbranch_execz .LBB0_13
; %bb.12:
	v_mov_b32_e32 v37, 0
	v_add_co_u32 v2, s0, s2, v40
	v_add_co_ci_u32_e64 v3, s0, s3, v41, s0
	v_lshlrev_b64 v[0:1], 4, v[36:37]
	v_add_co_u32 v8, s0, v2, v0
	v_add_co_ci_u32_e64 v9, s0, v3, v1, s0
	v_add_co_u32 v4, s0, 0x800, v8
	v_add_co_ci_u32_e64 v5, s0, 0, v9, s0
	;; [unrolled: 2-line block ×8, first 2 shown]
	s_clause 0x7
	global_load_dwordx4 v[0:3], v[8:9], off
	global_load_dwordx4 v[4:7], v[4:5], off offset:1840
	global_load_dwordx4 v[8:11], v[10:11], off offset:1632
	;; [unrolled: 1-line block ×7, first 2 shown]
	s_waitcnt vmcnt(7)
	ds_write_b128 v45, v[0:3]
	s_waitcnt vmcnt(6)
	ds_write_b128 v45, v[4:7] offset:3888
	s_waitcnt vmcnt(5)
	ds_write_b128 v45, v[8:11] offset:7776
	;; [unrolled: 2-line block ×7, first 2 shown]
.LBB0_13:
	s_or_b32 exec_lo, exec_lo, s1
	s_waitcnt lgkmcnt(0)
	s_barrier
	buffer_gl0_inv
	ds_read_b128 v[0:3], v45 offset:10368
	ds_read_b128 v[4:7], v45 offset:20736
	;; [unrolled: 1-line block ×6, first 2 shown]
	ds_read_b128 v[24:27], v45
	ds_read_b128 v[28:31], v45 offset:3888
	ds_read_b128 v[32:35], v45 offset:7776
	s_mov_b32 s0, 0xe8584caa
	s_mov_b32 s1, 0xbfebb67a
	;; [unrolled: 1-line block ×4, first 2 shown]
	v_lshl_add_u32 v37, v36, 5, v45
	v_mad_i32_i24 v39, v38, 48, 0
	s_waitcnt lgkmcnt(0)
	s_barrier
	buffer_gl0_inv
	v_add_f64 v[46:47], v[2:3], v[6:7]
	v_add_f64 v[43:44], v[0:1], v[4:5]
	;; [unrolled: 1-line block ×12, first 2 shown]
	v_add_f64 v[14:15], v[14:15], -v[10:11]
	v_add_f64 v[12:13], v[12:13], -v[8:9]
	;; [unrolled: 1-line block ×4, first 2 shown]
	v_fma_f64 v[26:27], v[46:47], -0.5, v[26:27]
	v_fma_f64 v[24:25], v[43:44], -0.5, v[24:25]
	;; [unrolled: 1-line block ×5, first 2 shown]
	v_add_f64 v[52:53], v[16:17], -v[20:21]
	v_fma_f64 v[54:55], v[54:55], -0.5, v[34:35]
	v_add_f64 v[43:44], v[0:1], -v[4:5]
	v_add_f64 v[4:5], v[56:57], v[4:5]
	v_add_f64 v[6:7], v[58:59], v[6:7]
	;; [unrolled: 1-line block ×6, first 2 shown]
	v_fma_f64 v[20:21], v[68:69], s[0:1], v[24:25]
	v_fma_f64 v[28:29], v[14:15], s[0:1], v[46:47]
	;; [unrolled: 1-line block ×12, first 2 shown]
	v_cmp_gt_u32_e64 s0, 0xa2, v36
	ds_write_b128 v37, v[4:7]
	ds_write_b128 v37, v[20:23] offset:16
	ds_write_b128 v37, v[24:27] offset:32
	ds_write_b128 v39, v[8:11]
	ds_write_b128 v39, v[28:31] offset:16
	ds_write_b128 v39, v[32:35] offset:32
	s_and_saveexec_b32 s1, s0
	s_cbranch_execz .LBB0_15
; %bb.14:
	v_mad_i32_i24 v4, v42, 48, 0
	ds_write_b128 v4, v[0:3]
	ds_write_b128 v4, v[12:15] offset:16
	ds_write_b128 v4, v[16:19] offset:32
.LBB0_15:
	s_or_b32 exec_lo, exec_lo, s1
	v_lshlrev_b32_e32 v43, 5, v38
	s_waitcnt lgkmcnt(0)
	s_barrier
	buffer_gl0_inv
	v_lshl_add_u32 v46, v42, 4, 0
	v_sub_nc_u32_e32 v4, v39, v43
	ds_read_b128 v[32:35], v45 offset:10368
	ds_read_b128 v[24:27], v45 offset:14256
	ds_read_b128 v[8:11], v45
	ds_read_b128 v[4:7], v4
	ds_read_b128 v[28:31], v45 offset:20736
	ds_read_b128 v[20:23], v45 offset:24624
	s_and_saveexec_b32 s1, s0
	s_cbranch_execz .LBB0_17
; %bb.16:
	ds_read_b128 v[0:3], v46
	ds_read_b128 v[12:15], v45 offset:18144
	ds_read_b128 v[16:19], v45 offset:28512
.LBB0_17:
	s_or_b32 exec_lo, exec_lo, s1
	v_and_b32_e32 v37, 0xff, v36
	v_mov_b32_e32 v60, 5
	v_mov_b32_e32 v47, 0xaaab
	s_mov_b32 s4, 0xe8584caa
	s_mov_b32 s5, 0xbfebb67a
	v_mul_lo_u16 v44, 0xab, v37
	s_mov_b32 s7, 0x3febb67a
	v_mul_u32_u24_sdwa v56, v38, v47 dst_sel:DWORD dst_unused:UNUSED_PAD src0_sel:WORD_0 src1_sel:DWORD
	s_mov_b32 s6, s4
	v_mov_b32_e32 v78, 0x90
	v_lshrrev_b16 v74, 9, v44
	v_lshrrev_b32_e32 v76, 17, v56
	v_mul_lo_u16 v44, v74, 3
	v_sub_nc_u16 v75, v36, v44
	v_lshlrev_b32_sdwa v44, v60, v75 dst_sel:DWORD dst_unused:UNUSED_PAD src0_sel:DWORD src1_sel:BYTE_0
	s_clause 0x1
	global_load_dwordx4 v[48:51], v44, s[8:9]
	global_load_dwordx4 v[52:55], v44, s[8:9] offset:16
	v_mul_lo_u16 v44, v76, 3
	v_sub_nc_u16 v77, v38, v44
	v_mul_u32_u24_sdwa v44, v42, v47 dst_sel:DWORD dst_unused:UNUSED_PAD src0_sel:WORD_0 src1_sel:DWORD
	v_lshlrev_b32_sdwa v61, v60, v77 dst_sel:DWORD dst_unused:UNUSED_PAD src0_sel:DWORD src1_sel:WORD_0
	v_lshrrev_b32_e32 v44, 17, v44
	global_load_dwordx4 v[56:59], v61, s[8:9]
	v_mul_lo_u16 v47, v44, 3
	v_sub_nc_u16 v47, v42, v47
	v_lshlrev_b32_sdwa v70, v60, v47 dst_sel:DWORD dst_unused:UNUSED_PAD src0_sel:DWORD src1_sel:WORD_0
	s_clause 0x1
	global_load_dwordx4 v[60:63], v61, s[8:9] offset:16
	global_load_dwordx4 v[64:67], v70, s[8:9]
	s_waitcnt vmcnt(4) lgkmcnt(5)
	v_mul_f64 v[68:69], v[34:35], v[50:51]
	v_mul_f64 v[50:51], v[32:33], v[50:51]
	v_fma_f64 v[68:69], v[32:33], v[48:49], v[68:69]
	v_fma_f64 v[48:49], v[34:35], v[48:49], -v[50:51]
	global_load_dwordx4 v[32:35], v70, s[8:9] offset:16
	s_waitcnt vmcnt(4) lgkmcnt(1)
	v_mul_f64 v[50:51], v[30:31], v[54:55]
	v_mul_f64 v[54:55], v[28:29], v[54:55]
	s_waitcnt vmcnt(3)
	v_mul_f64 v[70:71], v[26:27], v[58:59]
	s_waitcnt vmcnt(0) lgkmcnt(0)
	s_barrier
	buffer_gl0_inv
	v_fma_f64 v[28:29], v[28:29], v[52:53], v[50:51]
	v_mul_f64 v[50:51], v[24:25], v[58:59]
	v_mul_f64 v[58:59], v[14:15], v[66:67]
	v_fma_f64 v[24:25], v[24:25], v[56:57], v[70:71]
	v_fma_f64 v[30:31], v[30:31], v[52:53], -v[54:55]
	v_mul_f64 v[52:53], v[22:23], v[62:63]
	v_mul_f64 v[54:55], v[20:21], v[62:63]
	v_fma_f64 v[26:27], v[26:27], v[56:57], -v[50:51]
	v_mul_f64 v[56:57], v[12:13], v[66:67]
	v_fma_f64 v[12:13], v[12:13], v[64:65], v[58:59]
	v_add_f64 v[58:59], v[10:11], v[48:49]
	v_fma_f64 v[20:21], v[20:21], v[60:61], v[52:53]
	v_fma_f64 v[22:23], v[22:23], v[60:61], -v[54:55]
	v_add_f64 v[60:61], v[8:9], v[68:69]
	v_add_f64 v[62:63], v[6:7], v[26:27]
	v_fma_f64 v[14:15], v[14:15], v[64:65], -v[56:57]
	v_add_f64 v[70:71], v[0:1], v[12:13]
	v_add_f64 v[64:65], v[4:5], v[24:25]
	;; [unrolled: 1-line block ×4, first 2 shown]
	v_fma_f64 v[52:53], v[52:53], -0.5, v[6:7]
	v_add_f64 v[6:7], v[60:61], v[28:29]
	v_mul_f64 v[50:51], v[18:19], v[34:35]
	v_mul_f64 v[34:35], v[16:17], v[34:35]
	v_fma_f64 v[16:17], v[16:17], v[32:33], v[50:51]
	v_fma_f64 v[18:19], v[18:19], v[32:33], -v[34:35]
	v_add_f64 v[32:33], v[68:69], v[28:29]
	v_add_f64 v[34:35], v[48:49], v[30:31]
	;; [unrolled: 1-line block ×3, first 2 shown]
	v_add_f64 v[48:49], v[48:49], -v[30:31]
	v_add_f64 v[68:69], v[68:69], -v[28:29]
	v_add_f64 v[54:55], v[12:13], v[16:17]
	v_add_f64 v[56:57], v[14:15], v[18:19]
	v_add_f64 v[14:15], v[14:15], -v[18:19]
	v_add_f64 v[72:73], v[12:13], -v[16:17]
	v_fma_f64 v[32:33], v[32:33], -0.5, v[8:9]
	v_fma_f64 v[10:11], v[34:35], -0.5, v[10:11]
	v_add_f64 v[34:35], v[26:27], -v[22:23]
	v_fma_f64 v[4:5], v[50:51], -0.5, v[4:5]
	v_add_f64 v[50:51], v[24:25], -v[20:21]
	v_add_f64 v[8:9], v[58:59], v[30:31]
	v_add_f64 v[22:23], v[62:63], v[22:23]
	;; [unrolled: 1-line block ×3, first 2 shown]
	v_fma_f64 v[54:55], v[54:55], -0.5, v[0:1]
	v_fma_f64 v[56:57], v[56:57], -0.5, v[2:3]
	v_add_f64 v[2:3], v[66:67], v[18:19]
	v_add_f64 v[0:1], v[70:71], v[16:17]
	v_fma_f64 v[24:25], v[48:49], s[4:5], v[32:33]
	v_fma_f64 v[26:27], v[68:69], s[6:7], v[10:11]
	;; [unrolled: 1-line block ×8, first 2 shown]
	v_mov_b32_e32 v5, 4
	v_mul_u32_u24_sdwa v10, v74, v78 dst_sel:DWORD dst_unused:UNUSED_PAD src0_sel:WORD_0 src1_sel:DWORD
	v_mul_u32_u24_e32 v52, 0x90, v76
	v_sub_nc_u32_e32 v4, 0, v43
	v_lshlrev_b32_sdwa v11, v5, v75 dst_sel:DWORD dst_unused:UNUSED_PAD src0_sel:DWORD src1_sel:BYTE_0
	v_lshlrev_b32_sdwa v53, v5, v77 dst_sel:DWORD dst_unused:UNUSED_PAD src0_sel:DWORD src1_sel:WORD_0
	v_add3_u32 v10, 0, v10, v11
	v_fma_f64 v[12:13], v[14:15], s[4:5], v[54:55]
	v_fma_f64 v[16:17], v[14:15], s[6:7], v[54:55]
	;; [unrolled: 1-line block ×4, first 2 shown]
	v_add3_u32 v11, 0, v52, v53
	ds_write_b128 v10, v[6:9]
	ds_write_b128 v10, v[24:27] offset:48
	ds_write_b128 v10, v[28:31] offset:96
	ds_write_b128 v11, v[20:23]
	ds_write_b128 v11, v[32:35] offset:48
	ds_write_b128 v11, v[48:51] offset:96
	s_and_saveexec_b32 s1, s0
	s_cbranch_execz .LBB0_19
; %bb.18:
	v_mul_lo_u16 v6, v44, 9
	v_lshlrev_b32_sdwa v7, v5, v47 dst_sel:DWORD dst_unused:UNUSED_PAD src0_sel:DWORD src1_sel:WORD_0
	v_lshlrev_b32_sdwa v5, v5, v6 dst_sel:DWORD dst_unused:UNUSED_PAD src0_sel:DWORD src1_sel:WORD_0
	v_add3_u32 v5, 0, v7, v5
	ds_write_b128 v5, v[0:3]
	ds_write_b128 v5, v[12:15] offset:48
	ds_write_b128 v5, v[16:19] offset:96
.LBB0_19:
	s_or_b32 exec_lo, exec_lo, s1
	v_add_nc_u32_e32 v47, v39, v4
	s_waitcnt lgkmcnt(0)
	s_barrier
	buffer_gl0_inv
	ds_read_b128 v[8:11], v45
	ds_read_b128 v[4:7], v47
	ds_read_b128 v[32:35], v45 offset:10368
	ds_read_b128 v[24:27], v45 offset:14256
	;; [unrolled: 1-line block ×4, first 2 shown]
	s_and_saveexec_b32 s1, s0
	s_cbranch_execz .LBB0_21
; %bb.20:
	ds_read_b128 v[0:3], v46
	ds_read_b128 v[12:15], v45 offset:18144
	ds_read_b128 v[16:19], v45 offset:28512
.LBB0_21:
	s_or_b32 exec_lo, exec_lo, s1
	v_mul_lo_u16 v39, v37, 57
	v_mov_b32_e32 v60, 5
	v_mov_b32_e32 v43, 0xe38f
	s_mov_b32 s6, s4
	v_lshrrev_b16 v44, 9, v39
	v_mul_u32_u24_sdwa v56, v38, v43 dst_sel:DWORD dst_unused:UNUSED_PAD src0_sel:WORD_0 src1_sel:DWORD
	v_mul_lo_u16 v39, v44, 9
	v_lshrrev_b32_e32 v79, 19, v56
	v_sub_nc_u16 v78, v36, v39
	v_lshlrev_b32_sdwa v39, v60, v78 dst_sel:DWORD dst_unused:UNUSED_PAD src0_sel:DWORD src1_sel:BYTE_0
	s_clause 0x1
	global_load_dwordx4 v[48:51], v39, s[8:9] offset:96
	global_load_dwordx4 v[52:55], v39, s[8:9] offset:112
	v_mul_lo_u16 v39, v79, 9
	v_sub_nc_u16 v80, v38, v39
	v_mul_u32_u24_sdwa v39, v42, v43 dst_sel:DWORD dst_unused:UNUSED_PAD src0_sel:WORD_0 src1_sel:DWORD
	v_lshlrev_b32_sdwa v61, v60, v80 dst_sel:DWORD dst_unused:UNUSED_PAD src0_sel:DWORD src1_sel:WORD_0
	v_lshrrev_b32_e32 v39, 19, v39
	global_load_dwordx4 v[56:59], v61, s[8:9] offset:96
	v_mul_lo_u16 v43, v39, 9
	v_sub_nc_u16 v43, v42, v43
	v_lshlrev_b32_sdwa v70, v60, v43 dst_sel:DWORD dst_unused:UNUSED_PAD src0_sel:DWORD src1_sel:WORD_0
	s_clause 0x1
	global_load_dwordx4 v[60:63], v61, s[8:9] offset:112
	global_load_dwordx4 v[64:67], v70, s[8:9] offset:96
	s_waitcnt vmcnt(4) lgkmcnt(3)
	v_mul_f64 v[68:69], v[34:35], v[50:51]
	v_mul_f64 v[50:51], v[32:33], v[50:51]
	v_fma_f64 v[68:69], v[32:33], v[48:49], v[68:69]
	v_fma_f64 v[48:49], v[34:35], v[48:49], -v[50:51]
	global_load_dwordx4 v[32:35], v70, s[8:9] offset:112
	s_waitcnt vmcnt(4) lgkmcnt(1)
	v_mul_f64 v[50:51], v[30:31], v[54:55]
	v_mul_f64 v[54:55], v[28:29], v[54:55]
	s_waitcnt vmcnt(3)
	v_mul_f64 v[70:71], v[26:27], v[58:59]
	s_waitcnt vmcnt(0) lgkmcnt(0)
	s_barrier
	buffer_gl0_inv
	v_fma_f64 v[28:29], v[28:29], v[52:53], v[50:51]
	v_mul_f64 v[50:51], v[24:25], v[58:59]
	v_mul_f64 v[58:59], v[14:15], v[66:67]
	v_fma_f64 v[24:25], v[24:25], v[56:57], v[70:71]
	v_fma_f64 v[30:31], v[30:31], v[52:53], -v[54:55]
	v_mul_f64 v[52:53], v[22:23], v[62:63]
	v_mul_f64 v[54:55], v[20:21], v[62:63]
	v_fma_f64 v[26:27], v[26:27], v[56:57], -v[50:51]
	v_mul_f64 v[56:57], v[12:13], v[66:67]
	v_fma_f64 v[12:13], v[12:13], v[64:65], v[58:59]
	v_add_f64 v[58:59], v[8:9], v[68:69]
	v_fma_f64 v[20:21], v[20:21], v[60:61], v[52:53]
	v_fma_f64 v[22:23], v[22:23], v[60:61], -v[54:55]
	v_add_f64 v[60:61], v[10:11], v[48:49]
	v_add_f64 v[62:63], v[6:7], v[26:27]
	v_fma_f64 v[14:15], v[14:15], v[64:65], -v[56:57]
	v_add_f64 v[66:67], v[0:1], v[12:13]
	v_add_f64 v[64:65], v[4:5], v[24:25]
	v_add_f64 v[74:75], v[24:25], -v[20:21]
	v_add_f64 v[52:53], v[26:27], v[22:23]
	v_add_f64 v[72:73], v[26:27], -v[22:23]
	v_add_f64 v[22:23], v[62:63], v[22:23]
	v_add_f64 v[70:71], v[2:3], v[14:15]
	v_fma_f64 v[52:53], v[52:53], -0.5, v[6:7]
	v_mul_f64 v[50:51], v[18:19], v[34:35]
	v_mul_f64 v[34:35], v[16:17], v[34:35]
	v_fma_f64 v[16:17], v[16:17], v[32:33], v[50:51]
	v_fma_f64 v[18:19], v[18:19], v[32:33], -v[34:35]
	v_add_f64 v[32:33], v[68:69], v[28:29]
	v_add_f64 v[34:35], v[48:49], v[30:31]
	;; [unrolled: 1-line block ×3, first 2 shown]
	v_add_f64 v[48:49], v[48:49], -v[30:31]
	v_add_f64 v[68:69], v[68:69], -v[28:29]
	v_add_f64 v[20:21], v[64:65], v[20:21]
	v_add_f64 v[54:55], v[12:13], v[16:17]
	;; [unrolled: 1-line block ×3, first 2 shown]
	v_add_f64 v[14:15], v[14:15], -v[18:19]
	v_add_f64 v[76:77], v[12:13], -v[16:17]
	v_fma_f64 v[32:33], v[32:33], -0.5, v[8:9]
	v_fma_f64 v[34:35], v[34:35], -0.5, v[10:11]
	;; [unrolled: 1-line block ×3, first 2 shown]
	v_add_f64 v[11:12], v[60:61], v[30:31]
	v_add_f64 v[9:10], v[58:59], v[28:29]
	;; [unrolled: 1-line block ×4, first 2 shown]
	v_mov_b32_e32 v13, 0x1b0
	v_mov_b32_e32 v8, 4
	v_mul_u32_u24_sdwa v13, v44, v13 dst_sel:DWORD dst_unused:UNUSED_PAD src0_sel:WORD_0 src1_sel:DWORD
	v_lshlrev_b32_sdwa v44, v8, v80 dst_sel:DWORD dst_unused:UNUSED_PAD src0_sel:DWORD src1_sel:WORD_0
	v_fma_f64 v[54:55], v[54:55], -0.5, v[0:1]
	v_fma_f64 v[56:57], v[56:57], -0.5, v[2:3]
	v_fma_f64 v[24:25], v[48:49], s[4:5], v[32:33]
	v_fma_f64 v[26:27], v[68:69], s[6:7], v[34:35]
	;; [unrolled: 1-line block ×12, first 2 shown]
	v_lshlrev_b32_sdwa v14, v8, v78 dst_sel:DWORD dst_unused:UNUSED_PAD src0_sel:DWORD src1_sel:BYTE_0
	v_mul_u32_u24_e32 v15, 0x1b0, v79
	v_add3_u32 v13, 0, v13, v14
	v_add3_u32 v14, 0, v15, v44
	ds_write_b128 v13, v[9:12]
	ds_write_b128 v13, v[24:27] offset:144
	ds_write_b128 v13, v[28:31] offset:288
	ds_write_b128 v14, v[20:23]
	ds_write_b128 v14, v[32:35] offset:144
	ds_write_b128 v14, v[48:51] offset:288
	s_and_saveexec_b32 s1, s0
	s_cbranch_execz .LBB0_23
; %bb.22:
	v_mul_lo_u16 v9, v39, 27
	v_lshlrev_b32_sdwa v10, v8, v43 dst_sel:DWORD dst_unused:UNUSED_PAD src0_sel:DWORD src1_sel:WORD_0
	v_lshlrev_b32_sdwa v8, v8, v9 dst_sel:DWORD dst_unused:UNUSED_PAD src0_sel:DWORD src1_sel:WORD_0
	v_add3_u32 v8, 0, v10, v8
	ds_write_b128 v8, v[4:7]
	ds_write_b128 v8, v[0:3] offset:144
	ds_write_b128 v8, v[16:19] offset:288
.LBB0_23:
	s_or_b32 exec_lo, exec_lo, s1
	s_waitcnt lgkmcnt(0)
	s_barrier
	buffer_gl0_inv
	ds_read_b128 v[12:15], v45
	ds_read_b128 v[8:11], v47
	ds_read_b128 v[32:35], v45 offset:10368
	ds_read_b128 v[24:27], v45 offset:14256
	;; [unrolled: 1-line block ×4, first 2 shown]
	s_and_saveexec_b32 s1, s0
	s_cbranch_execz .LBB0_25
; %bb.24:
	ds_read_b128 v[4:7], v46
	ds_read_b128 v[0:3], v45 offset:18144
	ds_read_b128 v[16:19], v45 offset:28512
.LBB0_25:
	s_or_b32 exec_lo, exec_lo, s1
	v_mul_lo_u16 v39, v37, 19
	v_mov_b32_e32 v60, 5
	v_mov_b32_e32 v43, 0x2f69
	s_mov_b32 s6, 0xe8584caa
	s_mov_b32 s7, 0xbfebb67a
	v_lshrrev_b16 v44, 9, v39
	s_mov_b32 s5, 0x3febb67a
	v_mul_u32_u24_sdwa v52, v38, v43 dst_sel:DWORD dst_unused:UNUSED_PAD src0_sel:WORD_0 src1_sel:DWORD
	v_mul_u32_u24_sdwa v43, v42, v43 dst_sel:DWORD dst_unused:UNUSED_PAD src0_sel:WORD_0 src1_sel:DWORD
	s_mov_b32 s4, s6
	v_mul_lo_u16 v39, v44, 27
	v_lshrrev_b32_e32 v52, 16, v52
	v_sub_nc_u16 v74, v36, v39
	v_sub_nc_u16 v53, v38, v52
	v_lshlrev_b32_sdwa v39, v60, v74 dst_sel:DWORD dst_unused:UNUSED_PAD src0_sel:DWORD src1_sel:BYTE_0
	v_lshrrev_b16 v53, 1, v53
	global_load_dwordx4 v[48:51], v39, s[8:9] offset:384
	v_add_nc_u16 v56, v53, v52
	global_load_dwordx4 v[52:55], v39, s[8:9] offset:400
	v_lshrrev_b32_e32 v39, 16, v43
	v_lshrrev_b16 v75, 4, v56
	v_sub_nc_u16 v43, v42, v39
	v_mul_lo_u16 v56, v75, 27
	v_lshrrev_b16 v43, 1, v43
	v_sub_nc_u16 v76, v38, v56
	v_add_nc_u16 v39, v43, v39
	v_lshlrev_b32_sdwa v61, v60, v76 dst_sel:DWORD dst_unused:UNUSED_PAD src0_sel:DWORD src1_sel:WORD_0
	v_lshrrev_b16 v39, 4, v39
	global_load_dwordx4 v[56:59], v61, s[8:9] offset:384
	v_mul_lo_u16 v43, v39, 27
	v_sub_nc_u16 v43, v42, v43
	v_lshlrev_b32_sdwa v70, v60, v43 dst_sel:DWORD dst_unused:UNUSED_PAD src0_sel:DWORD src1_sel:WORD_0
	s_clause 0x1
	global_load_dwordx4 v[60:63], v61, s[8:9] offset:400
	global_load_dwordx4 v[64:67], v70, s[8:9] offset:384
	s_waitcnt vmcnt(4) lgkmcnt(3)
	v_mul_f64 v[68:69], v[34:35], v[50:51]
	v_mul_f64 v[50:51], v[32:33], v[50:51]
	v_fma_f64 v[68:69], v[32:33], v[48:49], v[68:69]
	v_fma_f64 v[48:49], v[34:35], v[48:49], -v[50:51]
	global_load_dwordx4 v[32:35], v70, s[8:9] offset:400
	s_waitcnt vmcnt(4) lgkmcnt(1)
	v_mul_f64 v[50:51], v[30:31], v[54:55]
	v_mul_f64 v[54:55], v[28:29], v[54:55]
	s_waitcnt vmcnt(0) lgkmcnt(0)
	s_barrier
	buffer_gl0_inv
	v_fma_f64 v[28:29], v[28:29], v[52:53], v[50:51]
	v_fma_f64 v[30:31], v[30:31], v[52:53], -v[54:55]
	v_mul_f64 v[50:51], v[26:27], v[58:59]
	v_mul_f64 v[52:53], v[24:25], v[58:59]
	;; [unrolled: 1-line block ×5, first 2 shown]
	v_fma_f64 v[24:25], v[24:25], v[56:57], v[50:51]
	v_fma_f64 v[26:27], v[26:27], v[56:57], -v[52:53]
	v_mul_f64 v[50:51], v[0:1], v[66:67]
	v_fma_f64 v[54:55], v[20:21], v[60:61], v[54:55]
	v_fma_f64 v[56:57], v[22:23], v[60:61], -v[58:59]
	v_fma_f64 v[20:21], v[0:1], v[64:65], v[62:63]
	v_add_f64 v[0:1], v[68:69], v[28:29]
	v_add_f64 v[58:59], v[12:13], v[68:69]
	v_add_f64 v[60:61], v[48:49], -v[30:31]
	v_add_f64 v[62:63], v[68:69], -v[28:29]
	v_add_f64 v[68:69], v[10:11], v[26:27]
	v_fma_f64 v[22:23], v[2:3], v[64:65], -v[50:51]
	v_add_f64 v[2:3], v[48:49], v[30:31]
	v_add_f64 v[48:49], v[14:15], v[48:49]
	;; [unrolled: 1-line block ×3, first 2 shown]
	v_fma_f64 v[0:1], v[0:1], -0.5, v[12:13]
	v_add_f64 v[66:67], v[26:27], -v[56:57]
	v_add_f64 v[70:71], v[24:25], -v[54:55]
	v_fma_f64 v[2:3], v[2:3], -0.5, v[14:15]
	v_mul_f64 v[52:53], v[18:19], v[34:35]
	v_mul_f64 v[34:35], v[16:17], v[34:35]
	v_fma_f64 v[16:17], v[16:17], v[32:33], v[52:53]
	v_fma_f64 v[18:19], v[18:19], v[32:33], -v[34:35]
	v_add_f64 v[32:33], v[24:25], v[54:55]
	v_add_f64 v[34:35], v[26:27], v[56:57]
	;; [unrolled: 1-line block ×4, first 2 shown]
	v_fma_f64 v[29:30], v[60:61], s[6:7], v[0:1]
	v_fma_f64 v[48:49], v[60:61], s[4:5], v[0:1]
	v_mov_b32_e32 v24, 4
	v_add_f64 v[50:51], v[20:21], v[16:17]
	v_add_f64 v[52:53], v[22:23], v[18:19]
	v_fma_f64 v[72:73], v[32:33], -0.5, v[8:9]
	v_add_f64 v[12:13], v[22:23], -v[18:19]
	v_fma_f64 v[33:34], v[34:35], -0.5, v[10:11]
	v_add_f64 v[14:15], v[20:21], -v[16:17]
	v_fma_f64 v[31:32], v[62:63], s[4:5], v[2:3]
	v_mov_b32_e32 v35, 0x510
	v_fma_f64 v[8:9], v[50:51], -0.5, v[4:5]
	v_fma_f64 v[10:11], v[52:53], -0.5, v[6:7]
	v_fma_f64 v[50:51], v[62:63], s[6:7], v[2:3]
	v_add_f64 v[52:53], v[64:65], v[54:55]
	v_add_f64 v[54:55], v[68:69], v[56:57]
	v_fma_f64 v[56:57], v[66:67], s[6:7], v[72:73]
	v_fma_f64 v[58:59], v[70:71], s[4:5], v[33:34]
	;; [unrolled: 1-line block ×4, first 2 shown]
	v_mul_u32_u24_sdwa v33, v44, v35 dst_sel:DWORD dst_unused:UNUSED_PAD src0_sel:WORD_0 src1_sel:DWORD
	v_lshlrev_b32_sdwa v34, v24, v74 dst_sel:DWORD dst_unused:UNUSED_PAD src0_sel:DWORD src1_sel:BYTE_0
	v_mul_u32_u24_sdwa v35, v75, v35 dst_sel:DWORD dst_unused:UNUSED_PAD src0_sel:WORD_0 src1_sel:DWORD
	v_lshlrev_b32_sdwa v44, v24, v76 dst_sel:DWORD dst_unused:UNUSED_PAD src0_sel:DWORD src1_sel:WORD_0
	v_add3_u32 v33, 0, v33, v34
	v_add3_u32 v34, 0, v35, v44
	ds_write_b128 v33, v[25:28]
	ds_write_b128 v33, v[29:32] offset:432
	ds_write_b128 v33, v[48:51] offset:864
	ds_write_b128 v34, v[52:55]
	ds_write_b128 v34, v[56:59] offset:432
	ds_write_b128 v34, v[60:63] offset:864
	v_fma_f64 v[0:1], v[12:13], s[4:5], v[8:9]
	v_fma_f64 v[2:3], v[14:15], s[6:7], v[10:11]
	s_and_saveexec_b32 s1, s0
	s_cbranch_execz .LBB0_27
; %bb.26:
	v_mul_f64 v[14:15], v[14:15], s[4:5]
	v_add_f64 v[22:23], v[6:7], v[22:23]
	v_add_f64 v[4:5], v[4:5], v[20:21]
	v_mul_f64 v[20:21], v[12:13], s[4:5]
	v_add_f64 v[6:7], v[14:15], v[10:11]
	v_add_f64 v[12:13], v[22:23], v[18:19]
	;; [unrolled: 1-line block ×3, first 2 shown]
	v_add_f64 v[4:5], v[8:9], -v[20:21]
	v_mul_lo_u16 v8, 0x51, v39
	v_lshlrev_b32_sdwa v9, v24, v43 dst_sel:DWORD dst_unused:UNUSED_PAD src0_sel:DWORD src1_sel:WORD_0
	v_lshlrev_b32_sdwa v8, v24, v8 dst_sel:DWORD dst_unused:UNUSED_PAD src0_sel:DWORD src1_sel:WORD_0
	v_add3_u32 v8, 0, v9, v8
	ds_write_b128 v8, v[10:13]
	ds_write_b128 v8, v[4:7] offset:432
	ds_write_b128 v8, v[0:3] offset:864
.LBB0_27:
	s_or_b32 exec_lo, exec_lo, s1
	v_mul_lo_u16 v4, 0xcb, v37
	v_mov_b32_e32 v5, 7
	s_waitcnt lgkmcnt(0)
	s_barrier
	buffer_gl0_inv
	v_lshrrev_b16 v35, 14, v4
	s_mov_b32 s4, 0x667f3bcd
	s_mov_b32 s5, 0xbfe6a09e
	;; [unrolled: 1-line block ×4, first 2 shown]
	v_mul_lo_u16 v4, 0x51, v35
	v_sub_nc_u16 v37, v36, v4
	v_mul_u32_u24_sdwa v4, v37, v5 dst_sel:DWORD dst_unused:UNUSED_PAD src0_sel:BYTE_0 src1_sel:DWORD
	v_lshlrev_b32_sdwa v24, v24, v37 dst_sel:DWORD dst_unused:UNUSED_PAD src0_sel:DWORD src1_sel:BYTE_0
	v_lshlrev_b32_e32 v29, 4, v4
	s_clause 0x6
	global_load_dwordx4 v[4:7], v29, s[8:9] offset:1248
	global_load_dwordx4 v[8:11], v29, s[8:9] offset:1264
	;; [unrolled: 1-line block ×7, first 2 shown]
	ds_read_b128 v[48:51], v47
	ds_read_b128 v[52:55], v46
	ds_read_b128 v[56:59], v45 offset:15552
	ds_read_b128 v[60:63], v45
	ds_read_b128 v[64:67], v45 offset:19440
	ds_read_b128 v[68:71], v45 offset:23328
	;; [unrolled: 1-line block ×3, first 2 shown]
	s_waitcnt vmcnt(6) lgkmcnt(6)
	v_mul_f64 v[33:34], v[50:51], v[6:7]
	v_mul_f64 v[6:7], v[48:49], v[6:7]
	s_waitcnt vmcnt(5) lgkmcnt(5)
	v_mul_f64 v[43:44], v[54:55], v[10:11]
	v_mul_f64 v[10:11], v[52:53], v[10:11]
	;; [unrolled: 3-line block ×3, first 2 shown]
	v_fma_f64 v[33:34], v[48:49], v[4:5], v[33:34]
	v_fma_f64 v[48:49], v[50:51], v[4:5], -v[6:7]
	ds_read_b128 v[4:7], v45 offset:27216
	s_waitcnt vmcnt(3) lgkmcnt(3)
	v_mul_f64 v[50:51], v[66:67], v[18:19]
	v_mul_f64 v[18:19], v[64:65], v[18:19]
	v_fma_f64 v[43:44], v[52:53], v[8:9], v[43:44]
	v_fma_f64 v[8:9], v[54:55], v[8:9], -v[10:11]
	s_waitcnt vmcnt(2) lgkmcnt(2)
	v_mul_f64 v[10:11], v[70:71], v[22:23]
	v_mul_f64 v[22:23], v[68:69], v[22:23]
	s_waitcnt vmcnt(1) lgkmcnt(1)
	v_mul_f64 v[52:53], v[74:75], v[27:28]
	v_mul_f64 v[27:28], v[72:73], v[27:28]
	v_fma_f64 v[54:55], v[56:57], v[12:13], v[76:77]
	v_fma_f64 v[12:13], v[58:59], v[12:13], -v[14:15]
	s_waitcnt vmcnt(0) lgkmcnt(0)
	s_barrier
	buffer_gl0_inv
	v_mul_f64 v[14:15], v[6:7], v[31:32]
	v_mul_f64 v[31:32], v[4:5], v[31:32]
	v_fma_f64 v[10:11], v[68:69], v[20:21], v[10:11]
	v_fma_f64 v[20:21], v[70:71], v[20:21], -v[22:23]
	v_fma_f64 v[22:23], v[64:65], v[16:17], v[50:51]
	v_fma_f64 v[16:17], v[66:67], v[16:17], -v[18:19]
	;; [unrolled: 2-line block ×3, first 2 shown]
	v_add_f64 v[12:13], v[62:63], -v[12:13]
	v_fma_f64 v[4:5], v[4:5], v[29:30], v[14:15]
	v_fma_f64 v[6:7], v[6:7], v[29:30], -v[31:32]
	v_add_f64 v[14:15], v[60:61], -v[54:55]
	v_add_f64 v[10:11], v[43:44], -v[10:11]
	;; [unrolled: 1-line block ×5, first 2 shown]
	v_fma_f64 v[29:30], v[62:63], 2.0, -v[12:13]
	v_add_f64 v[4:5], v[18:19], -v[4:5]
	v_add_f64 v[6:7], v[25:26], -v[6:7]
	v_fma_f64 v[27:28], v[60:61], 2.0, -v[14:15]
	v_fma_f64 v[31:32], v[43:44], 2.0, -v[10:11]
	;; [unrolled: 1-line block ×5, first 2 shown]
	v_add_f64 v[50:51], v[12:13], -v[10:11]
	v_add_f64 v[48:49], v[14:15], v[20:21]
	v_fma_f64 v[10:11], v[18:19], 2.0, -v[4:5]
	v_fma_f64 v[18:19], v[25:26], 2.0, -v[6:7]
	v_add_f64 v[20:21], v[22:23], v[6:7]
	v_add_f64 v[25:26], v[16:17], -v[4:5]
	v_add_f64 v[31:32], v[27:28], -v[31:32]
	;; [unrolled: 1-line block ×3, first 2 shown]
	v_fma_f64 v[56:57], v[12:13], 2.0, -v[50:51]
	v_fma_f64 v[54:55], v[14:15], 2.0, -v[48:49]
	v_add_f64 v[6:7], v[33:34], -v[10:11]
	v_add_f64 v[4:5], v[43:44], -v[18:19]
	v_fma_f64 v[18:19], v[22:23], 2.0, -v[20:21]
	v_fma_f64 v[16:17], v[16:17], 2.0, -v[25:26]
	v_fma_f64 v[8:9], v[20:21], s[6:7], v[48:49]
	v_fma_f64 v[10:11], v[25:26], s[6:7], v[50:51]
	v_fma_f64 v[58:59], v[27:28], 2.0, -v[31:32]
	v_fma_f64 v[60:61], v[29:30], 2.0, -v[52:53]
	;; [unrolled: 1-line block ×4, first 2 shown]
	v_fma_f64 v[22:23], v[18:19], s[4:5], v[54:55]
	v_fma_f64 v[27:28], v[16:17], s[4:5], v[56:57]
	v_add_f64 v[4:5], v[31:32], v[4:5]
	v_add_f64 v[6:7], v[52:53], -v[6:7]
	v_fma_f64 v[8:9], v[25:26], s[6:7], v[8:9]
	v_fma_f64 v[10:11], v[20:21], s[4:5], v[10:11]
	v_mov_b32_e32 v33, 0x2880
	v_mul_u32_u24_sdwa v33, v35, v33 dst_sel:DWORD dst_unused:UNUSED_PAD src0_sel:WORD_0 src1_sel:DWORD
	v_add3_u32 v24, 0, v33, v24
	v_add_f64 v[12:13], v[58:59], -v[12:13]
	v_add_f64 v[14:15], v[60:61], -v[14:15]
	v_fma_f64 v[16:17], v[16:17], s[6:7], v[22:23]
	v_fma_f64 v[18:19], v[18:19], s[4:5], v[27:28]
	v_fma_f64 v[20:21], v[31:32], 2.0, -v[4:5]
	v_fma_f64 v[22:23], v[52:53], 2.0, -v[6:7]
	;; [unrolled: 1-line block ×8, first 2 shown]
	ds_write_b128 v24, v[4:7] offset:7776
	ds_write_b128 v24, v[8:11] offset:9072
	;; [unrolled: 1-line block ×6, first 2 shown]
	ds_write_b128 v24, v[29:32]
	ds_write_b128 v24, v[48:51] offset:1296
	s_waitcnt lgkmcnt(0)
	s_barrier
	buffer_gl0_inv
	ds_read_b128 v[16:19], v45
	ds_read_b128 v[12:15], v47
	ds_read_b128 v[28:31], v45 offset:10368
	ds_read_b128 v[20:23], v45 offset:14256
	;; [unrolled: 1-line block ×4, first 2 shown]
	s_and_saveexec_b32 s1, s0
	s_cbranch_execz .LBB0_29
; %bb.28:
	ds_read_b128 v[4:7], v46
	ds_read_b128 v[8:11], v45 offset:18144
	ds_read_b128 v[0:3], v45 offset:28512
.LBB0_29:
	s_or_b32 exec_lo, exec_lo, s1
	v_lshlrev_b32_e32 v43, 1, v36
	v_mov_b32_e32 v44, 0
	s_mov_b32 s4, 0xe8584caa
	s_mov_b32 s5, 0xbfebb67a
	;; [unrolled: 1-line block ×4, first 2 shown]
	v_lshlrev_b64 v[48:49], 4, v[43:44]
	v_lshlrev_b32_e32 v43, 1, v38
	v_add_co_u32 v37, s1, s8, v48
	v_add_co_ci_u32_e64 v39, s1, s9, v49, s1
	v_lshlrev_b64 v[48:49], 4, v[43:44]
	v_add_co_u32 v52, s1, 0x2850, v37
	v_add_co_ci_u32_e64 v53, s1, 0, v39, s1
	v_add_co_u32 v43, s1, s8, v48
	v_add_co_ci_u32_e64 v50, s1, s9, v49, s1
	;; [unrolled: 2-line block ×5, first 2 shown]
	s_clause 0x3
	global_load_dwordx4 v[48:51], v[48:49], off offset:80
	global_load_dwordx4 v[52:55], v[52:53], off offset:16
	;; [unrolled: 1-line block ×4, first 2 shown]
	s_waitcnt vmcnt(0) lgkmcnt(0)
	s_barrier
	buffer_gl0_inv
	v_mul_f64 v[64:65], v[30:31], v[50:51]
	v_mul_f64 v[66:67], v[34:35], v[54:55]
	;; [unrolled: 1-line block ×8, first 2 shown]
	v_fma_f64 v[28:29], v[28:29], v[48:49], v[64:65]
	v_fma_f64 v[32:33], v[32:33], v[52:53], v[66:67]
	v_fma_f64 v[30:31], v[30:31], v[48:49], -v[50:51]
	v_fma_f64 v[34:35], v[34:35], v[52:53], -v[54:55]
	v_fma_f64 v[20:21], v[20:21], v[56:57], v[68:69]
	v_fma_f64 v[24:25], v[24:25], v[60:61], v[70:71]
	v_fma_f64 v[22:23], v[22:23], v[56:57], -v[58:59]
	v_fma_f64 v[26:27], v[26:27], v[60:61], -v[62:63]
	v_add_f64 v[56:57], v[16:17], v[28:29]
	v_add_f64 v[48:49], v[28:29], v[32:33]
	v_add_f64 v[28:29], v[28:29], -v[32:33]
	v_add_f64 v[50:51], v[30:31], v[34:35]
	v_add_f64 v[58:59], v[30:31], -v[34:35]
	v_add_f64 v[52:53], v[20:21], v[24:25]
	v_add_f64 v[30:31], v[18:19], v[30:31]
	;; [unrolled: 1-line block ×5, first 2 shown]
	v_add_f64 v[64:65], v[22:23], -v[26:27]
	v_add_f64 v[66:67], v[20:21], -v[24:25]
	v_fma_f64 v[48:49], v[48:49], -0.5, v[16:17]
	v_fma_f64 v[50:51], v[50:51], -0.5, v[18:19]
	;; [unrolled: 1-line block ×3, first 2 shown]
	v_add_f64 v[12:13], v[56:57], v[32:33]
	v_fma_f64 v[54:55], v[54:55], -0.5, v[14:15]
	v_add_f64 v[14:15], v[30:31], v[34:35]
	v_add_f64 v[16:17], v[60:61], v[24:25]
	;; [unrolled: 1-line block ×3, first 2 shown]
	v_fma_f64 v[20:21], v[58:59], s[4:5], v[48:49]
	v_fma_f64 v[24:25], v[58:59], s[6:7], v[48:49]
	;; [unrolled: 1-line block ×8, first 2 shown]
	ds_write_b128 v45, v[12:15]
	ds_write_b128 v45, v[20:23] offset:10368
	ds_write_b128 v45, v[24:27] offset:20736
	ds_write_b128 v47, v[16:19]
	ds_write_b128 v47, v[28:31] offset:10368
	ds_write_b128 v47, v[32:35] offset:20736
	s_and_saveexec_b32 s1, s0
	s_cbranch_execz .LBB0_31
; %bb.30:
	v_add_nc_u32_e32 v12, 0xffffff5e, v36
	v_cndmask_b32_e64 v12, v12, v42, s0
	v_lshlrev_b32_e32 v43, 1, v12
	v_lshlrev_b64 v[12:13], 4, v[43:44]
	v_add_co_u32 v14, s0, s8, v12
	v_add_co_ci_u32_e64 v15, s0, s9, v13, s0
	v_add_co_u32 v12, s0, 0x2800, v14
	v_add_co_ci_u32_e64 v13, s0, 0, v15, s0
	;; [unrolled: 2-line block ×3, first 2 shown]
	s_clause 0x1
	global_load_dwordx4 v[12:15], v[12:13], off offset:80
	global_load_dwordx4 v[16:19], v[16:17], off offset:16
	s_waitcnt vmcnt(1)
	v_mul_f64 v[20:21], v[8:9], v[14:15]
	s_waitcnt vmcnt(0)
	v_mul_f64 v[22:23], v[0:1], v[18:19]
	v_mul_f64 v[14:15], v[10:11], v[14:15]
	v_mul_f64 v[18:19], v[2:3], v[18:19]
	v_fma_f64 v[10:11], v[10:11], v[12:13], -v[20:21]
	v_fma_f64 v[2:3], v[2:3], v[16:17], -v[22:23]
	v_fma_f64 v[8:9], v[8:9], v[12:13], v[14:15]
	v_fma_f64 v[0:1], v[0:1], v[16:17], v[18:19]
	v_add_f64 v[18:19], v[6:7], v[10:11]
	v_add_f64 v[12:13], v[10:11], v[2:3]
	v_add_f64 v[20:21], v[10:11], -v[2:3]
	v_add_f64 v[14:15], v[8:9], v[0:1]
	v_add_f64 v[16:17], v[8:9], -v[0:1]
	v_add_f64 v[8:9], v[4:5], v[8:9]
	v_add_f64 v[2:3], v[18:19], v[2:3]
	v_fma_f64 v[12:13], v[12:13], -0.5, v[6:7]
	v_fma_f64 v[4:5], v[14:15], -0.5, v[4:5]
	v_add_f64 v[0:1], v[8:9], v[0:1]
	v_fma_f64 v[10:11], v[16:17], s[6:7], v[12:13]
	v_fma_f64 v[6:7], v[16:17], s[4:5], v[12:13]
	;; [unrolled: 1-line block ×4, first 2 shown]
	ds_write_b128 v45, v[0:3] offset:7776
	ds_write_b128 v45, v[8:11] offset:18144
	;; [unrolled: 1-line block ×3, first 2 shown]
.LBB0_31:
	s_or_b32 exec_lo, exec_lo, s1
	s_waitcnt lgkmcnt(0)
	s_barrier
	buffer_gl0_inv
	ds_read_b128 v[4:7], v45
	v_lshlrev_b32_e32 v0, 4, v36
	s_add_u32 s1, s8, 0x7950
	s_addc_u32 s4, s9, 0
	s_mov_b32 s5, exec_lo
                                        ; implicit-def: $vgpr8_vgpr9
                                        ; implicit-def: $vgpr10_vgpr11
	v_sub_nc_u32_e32 v12, 0, v0
                                        ; implicit-def: $vgpr0_vgpr1
	v_cmpx_ne_u32_e32 0, v36
	s_xor_b32 s5, exec_lo, s5
	s_cbranch_execz .LBB0_33
; %bb.32:
	v_mov_b32_e32 v37, 0
	v_lshlrev_b64 v[0:1], 4, v[36:37]
	v_add_co_u32 v0, s0, s1, v0
	v_add_co_ci_u32_e64 v1, s0, s4, v1, s0
	global_load_dwordx4 v[13:16], v[0:1], off
	ds_read_b128 v[0:3], v12 offset:31104
	s_waitcnt lgkmcnt(0)
	v_add_f64 v[8:9], v[4:5], -v[0:1]
	v_add_f64 v[10:11], v[6:7], v[2:3]
	v_add_f64 v[2:3], v[6:7], -v[2:3]
	v_add_f64 v[0:1], v[4:5], v[0:1]
	v_mul_f64 v[6:7], v[8:9], 0.5
	v_mul_f64 v[4:5], v[10:11], 0.5
	;; [unrolled: 1-line block ×3, first 2 shown]
	s_waitcnt vmcnt(0)
	v_mul_f64 v[8:9], v[6:7], v[15:16]
	v_fma_f64 v[10:11], v[4:5], v[15:16], v[2:3]
	v_fma_f64 v[2:3], v[4:5], v[15:16], -v[2:3]
	v_fma_f64 v[17:18], v[0:1], 0.5, v[8:9]
	v_fma_f64 v[0:1], v[0:1], 0.5, -v[8:9]
	v_fma_f64 v[10:11], -v[13:14], v[6:7], v[10:11]
	v_fma_f64 v[2:3], -v[13:14], v[6:7], v[2:3]
	v_fma_f64 v[8:9], v[4:5], v[13:14], v[17:18]
	v_fma_f64 v[0:1], -v[4:5], v[13:14], v[0:1]
                                        ; implicit-def: $vgpr4_vgpr5
.LBB0_33:
	s_andn2_saveexec_b32 s0, s5
	s_cbranch_execz .LBB0_35
; %bb.34:
	v_mov_b32_e32 v15, 0
	s_waitcnt lgkmcnt(0)
	v_add_f64 v[8:9], v[4:5], v[6:7]
	v_add_f64 v[0:1], v[4:5], -v[6:7]
	v_mov_b32_e32 v10, 0
	v_mov_b32_e32 v11, 0
	ds_read_b64 v[13:14], v15 offset:15560
	v_mov_b32_e32 v2, v10
	v_mov_b32_e32 v3, v11
	s_waitcnt lgkmcnt(0)
	v_xor_b32_e32 v14, 0x80000000, v14
	ds_write_b64 v15, v[13:14] offset:15560
.LBB0_35:
	s_or_b32 exec_lo, exec_lo, s0
	v_mov_b32_e32 v39, 0
	ds_write2_b64 v45, v[8:9], v[10:11] offset1:1
	ds_write_b128 v12, v[0:3] offset:31104
	s_waitcnt lgkmcnt(2)
	v_lshlrev_b64 v[4:5], 4, v[38:39]
	v_mov_b32_e32 v43, v39
	v_add_nc_u32_e32 v38, 0x2d9, v36
	v_lshlrev_b64 v[13:14], 4, v[42:43]
	v_add_co_u32 v4, s0, s1, v4
	v_add_co_ci_u32_e64 v5, s0, s4, v5, s0
	v_lshlrev_b64 v[17:18], 4, v[38:39]
	v_add_co_u32 v13, s0, s1, v13
	global_load_dwordx4 v[4:7], v[4:5], off
	v_add_co_ci_u32_e64 v14, s0, s4, v14, s0
	v_add_co_u32 v17, s0, s1, v17
	v_add_co_ci_u32_e64 v18, s0, s4, v18, s0
	global_load_dwordx4 v[13:16], v[13:14], off
	ds_read_b128 v[0:3], v47
	ds_read_b128 v[8:11], v12 offset:27216
	global_load_dwordx4 v[17:20], v[17:18], off
	s_waitcnt lgkmcnt(0)
	v_add_f64 v[21:22], v[0:1], -v[8:9]
	v_add_f64 v[23:24], v[2:3], v[10:11]
	v_add_f64 v[2:3], v[2:3], -v[10:11]
	v_add_f64 v[0:1], v[0:1], v[8:9]
	v_mul_f64 v[10:11], v[21:22], 0.5
	v_mul_f64 v[21:22], v[23:24], 0.5
	;; [unrolled: 1-line block ×3, first 2 shown]
	s_waitcnt vmcnt(2)
	v_mul_f64 v[8:9], v[10:11], v[6:7]
	v_fma_f64 v[23:24], v[21:22], v[6:7], v[2:3]
	v_fma_f64 v[2:3], v[21:22], v[6:7], -v[2:3]
	v_fma_f64 v[6:7], v[0:1], 0.5, v[8:9]
	v_fma_f64 v[0:1], v[0:1], 0.5, -v[8:9]
	v_fma_f64 v[8:9], -v[4:5], v[10:11], v[23:24]
	v_fma_f64 v[2:3], -v[4:5], v[10:11], v[2:3]
	v_fma_f64 v[6:7], v[21:22], v[4:5], v[6:7]
	v_fma_f64 v[0:1], -v[21:22], v[4:5], v[0:1]
	ds_write_b64 v47, v[8:9] offset:8
	ds_write_b64 v12, v[2:3] offset:27224
	ds_write_b64 v47, v[6:7]
	ds_write_b64 v12, v[0:1] offset:27216
	ds_read_b128 v[0:3], v46
	ds_read_b128 v[4:7], v12 offset:23328
	s_waitcnt lgkmcnt(0)
	v_add_f64 v[8:9], v[0:1], -v[4:5]
	v_add_f64 v[10:11], v[2:3], v[6:7]
	v_add_f64 v[2:3], v[2:3], -v[6:7]
	v_add_f64 v[0:1], v[0:1], v[4:5]
	v_mul_f64 v[6:7], v[8:9], 0.5
	v_mul_f64 v[8:9], v[10:11], 0.5
	;; [unrolled: 1-line block ×3, first 2 shown]
	s_waitcnt vmcnt(1)
	v_mul_f64 v[4:5], v[6:7], v[15:16]
	v_fma_f64 v[10:11], v[8:9], v[15:16], v[2:3]
	v_fma_f64 v[2:3], v[8:9], v[15:16], -v[2:3]
	v_fma_f64 v[15:16], v[0:1], 0.5, v[4:5]
	v_fma_f64 v[0:1], v[0:1], 0.5, -v[4:5]
	v_fma_f64 v[4:5], -v[13:14], v[6:7], v[10:11]
	v_fma_f64 v[2:3], -v[13:14], v[6:7], v[2:3]
	v_fma_f64 v[6:7], v[8:9], v[13:14], v[15:16]
	v_fma_f64 v[0:1], -v[8:9], v[13:14], v[0:1]
	ds_write2_b64 v46, v[6:7], v[4:5] offset1:1
	ds_write_b128 v12, v[0:3] offset:23328
	ds_read_b128 v[0:3], v45 offset:11664
	ds_read_b128 v[4:7], v12 offset:19440
	s_waitcnt lgkmcnt(0)
	v_add_f64 v[8:9], v[0:1], -v[4:5]
	v_add_f64 v[10:11], v[2:3], v[6:7]
	v_add_f64 v[2:3], v[2:3], -v[6:7]
	v_add_f64 v[0:1], v[0:1], v[4:5]
	v_mul_f64 v[6:7], v[8:9], 0.5
	v_mul_f64 v[8:9], v[10:11], 0.5
	;; [unrolled: 1-line block ×3, first 2 shown]
	s_waitcnt vmcnt(0)
	v_mul_f64 v[4:5], v[6:7], v[19:20]
	v_fma_f64 v[10:11], v[8:9], v[19:20], v[2:3]
	v_fma_f64 v[2:3], v[8:9], v[19:20], -v[2:3]
	v_fma_f64 v[13:14], v[0:1], 0.5, v[4:5]
	v_fma_f64 v[0:1], v[0:1], 0.5, -v[4:5]
	v_fma_f64 v[4:5], -v[17:18], v[6:7], v[10:11]
	v_fma_f64 v[2:3], -v[17:18], v[6:7], v[2:3]
	v_fma_f64 v[6:7], v[8:9], v[17:18], v[13:14]
	v_fma_f64 v[0:1], -v[8:9], v[17:18], v[0:1]
	v_add_nc_u32_e32 v8, 0x2800, v45
	ds_write2_b64 v8, v[6:7], v[4:5] offset0:178 offset1:179
	ds_write_b128 v12, v[0:3] offset:19440
	s_waitcnt lgkmcnt(0)
	s_barrier
	buffer_gl0_inv
	s_and_saveexec_b32 s0, vcc_lo
	s_cbranch_execz .LBB0_38
; %bb.36:
	v_mov_b32_e32 v37, v39
	v_add_co_u32 v0, vcc_lo, s2, v40
	ds_read_b128 v[2:5], v45
	ds_read_b128 v[6:9], v45 offset:3888
	ds_read_b128 v[10:13], v45 offset:7776
	ds_read_b128 v[14:17], v45 offset:11664
	v_add_co_ci_u32_e32 v1, vcc_lo, s3, v41, vcc_lo
	v_lshlrev_b64 v[18:19], 4, v[36:37]
	v_add_co_u32 v18, vcc_lo, v0, v18
	v_add_co_ci_u32_e32 v19, vcc_lo, v1, v19, vcc_lo
	v_add_co_u32 v20, vcc_lo, 0x800, v18
	v_add_co_ci_u32_e32 v21, vcc_lo, 0, v19, vcc_lo
	;; [unrolled: 2-line block ×4, first 2 shown]
	s_waitcnt lgkmcnt(3)
	global_store_dwordx4 v[18:19], v[2:5], off
	s_waitcnt lgkmcnt(2)
	global_store_dwordx4 v[20:21], v[6:9], off offset:1840
	s_waitcnt lgkmcnt(1)
	global_store_dwordx4 v[22:23], v[10:13], off offset:1632
	;; [unrolled: 2-line block ×3, first 2 shown]
	ds_read_b128 v[2:5], v45 offset:15552
	ds_read_b128 v[6:9], v45 offset:19440
	ds_read_b128 v[10:13], v45 offset:23328
	ds_read_b128 v[14:17], v45 offset:27216
	v_add_co_u32 v20, vcc_lo, 0x3800, v18
	v_add_co_ci_u32_e32 v21, vcc_lo, 0, v19, vcc_lo
	v_add_co_u32 v22, vcc_lo, 0x4800, v18
	v_add_co_ci_u32_e32 v23, vcc_lo, 0, v19, vcc_lo
	;; [unrolled: 2-line block ×4, first 2 shown]
	v_cmp_eq_u32_e32 vcc_lo, 0xf2, v36
	s_waitcnt lgkmcnt(3)
	global_store_dwordx4 v[20:21], v[2:5], off offset:1216
	s_waitcnt lgkmcnt(2)
	global_store_dwordx4 v[22:23], v[6:9], off offset:1008
	;; [unrolled: 2-line block ×4, first 2 shown]
	s_and_b32 exec_lo, exec_lo, vcc_lo
	s_cbranch_execz .LBB0_38
; %bb.37:
	v_mov_b32_e32 v2, 0
	v_add_co_u32 v0, vcc_lo, 0x7800, v0
	v_add_co_ci_u32_e32 v1, vcc_lo, 0, v1, vcc_lo
	ds_read_b128 v[2:5], v2 offset:31104
	s_waitcnt lgkmcnt(0)
	global_store_dwordx4 v[0:1], v[2:5], off offset:384
.LBB0_38:
	s_endpgm
	.section	.rodata,"a",@progbits
	.p2align	6, 0x0
	.amdhsa_kernel fft_rtc_back_len1944_factors_3_3_3_3_8_3_wgs_243_tpt_243_halfLds_dp_ip_CI_unitstride_sbrr_R2C_dirReg
		.amdhsa_group_segment_fixed_size 0
		.amdhsa_private_segment_fixed_size 0
		.amdhsa_kernarg_size 88
		.amdhsa_user_sgpr_count 6
		.amdhsa_user_sgpr_private_segment_buffer 1
		.amdhsa_user_sgpr_dispatch_ptr 0
		.amdhsa_user_sgpr_queue_ptr 0
		.amdhsa_user_sgpr_kernarg_segment_ptr 1
		.amdhsa_user_sgpr_dispatch_id 0
		.amdhsa_user_sgpr_flat_scratch_init 0
		.amdhsa_user_sgpr_private_segment_size 0
		.amdhsa_wavefront_size32 1
		.amdhsa_uses_dynamic_stack 0
		.amdhsa_system_sgpr_private_segment_wavefront_offset 0
		.amdhsa_system_sgpr_workgroup_id_x 1
		.amdhsa_system_sgpr_workgroup_id_y 0
		.amdhsa_system_sgpr_workgroup_id_z 0
		.amdhsa_system_sgpr_workgroup_info 0
		.amdhsa_system_vgpr_workitem_id 0
		.amdhsa_next_free_vgpr 81
		.amdhsa_next_free_sgpr 21
		.amdhsa_reserve_vcc 1
		.amdhsa_reserve_flat_scratch 0
		.amdhsa_float_round_mode_32 0
		.amdhsa_float_round_mode_16_64 0
		.amdhsa_float_denorm_mode_32 3
		.amdhsa_float_denorm_mode_16_64 3
		.amdhsa_dx10_clamp 1
		.amdhsa_ieee_mode 1
		.amdhsa_fp16_overflow 0
		.amdhsa_workgroup_processor_mode 1
		.amdhsa_memory_ordered 1
		.amdhsa_forward_progress 0
		.amdhsa_shared_vgpr_count 0
		.amdhsa_exception_fp_ieee_invalid_op 0
		.amdhsa_exception_fp_denorm_src 0
		.amdhsa_exception_fp_ieee_div_zero 0
		.amdhsa_exception_fp_ieee_overflow 0
		.amdhsa_exception_fp_ieee_underflow 0
		.amdhsa_exception_fp_ieee_inexact 0
		.amdhsa_exception_int_div_zero 0
	.end_amdhsa_kernel
	.text
.Lfunc_end0:
	.size	fft_rtc_back_len1944_factors_3_3_3_3_8_3_wgs_243_tpt_243_halfLds_dp_ip_CI_unitstride_sbrr_R2C_dirReg, .Lfunc_end0-fft_rtc_back_len1944_factors_3_3_3_3_8_3_wgs_243_tpt_243_halfLds_dp_ip_CI_unitstride_sbrr_R2C_dirReg
                                        ; -- End function
	.section	.AMDGPU.csdata,"",@progbits
; Kernel info:
; codeLenInByte = 8772
; NumSgprs: 23
; NumVgprs: 81
; ScratchSize: 0
; MemoryBound: 0
; FloatMode: 240
; IeeeMode: 1
; LDSByteSize: 0 bytes/workgroup (compile time only)
; SGPRBlocks: 2
; VGPRBlocks: 10
; NumSGPRsForWavesPerEU: 23
; NumVGPRsForWavesPerEU: 81
; Occupancy: 10
; WaveLimiterHint : 1
; COMPUTE_PGM_RSRC2:SCRATCH_EN: 0
; COMPUTE_PGM_RSRC2:USER_SGPR: 6
; COMPUTE_PGM_RSRC2:TRAP_HANDLER: 0
; COMPUTE_PGM_RSRC2:TGID_X_EN: 1
; COMPUTE_PGM_RSRC2:TGID_Y_EN: 0
; COMPUTE_PGM_RSRC2:TGID_Z_EN: 0
; COMPUTE_PGM_RSRC2:TIDIG_COMP_CNT: 0
	.text
	.p2alignl 6, 3214868480
	.fill 48, 4, 3214868480
	.type	__hip_cuid_5463e1641e77ef57,@object ; @__hip_cuid_5463e1641e77ef57
	.section	.bss,"aw",@nobits
	.globl	__hip_cuid_5463e1641e77ef57
__hip_cuid_5463e1641e77ef57:
	.byte	0                               ; 0x0
	.size	__hip_cuid_5463e1641e77ef57, 1

	.ident	"AMD clang version 19.0.0git (https://github.com/RadeonOpenCompute/llvm-project roc-6.4.0 25133 c7fe45cf4b819c5991fe208aaa96edf142730f1d)"
	.section	".note.GNU-stack","",@progbits
	.addrsig
	.addrsig_sym __hip_cuid_5463e1641e77ef57
	.amdgpu_metadata
---
amdhsa.kernels:
  - .args:
      - .actual_access:  read_only
        .address_space:  global
        .offset:         0
        .size:           8
        .value_kind:     global_buffer
      - .offset:         8
        .size:           8
        .value_kind:     by_value
      - .actual_access:  read_only
        .address_space:  global
        .offset:         16
        .size:           8
        .value_kind:     global_buffer
      - .actual_access:  read_only
        .address_space:  global
        .offset:         24
        .size:           8
        .value_kind:     global_buffer
      - .offset:         32
        .size:           8
        .value_kind:     by_value
      - .actual_access:  read_only
        .address_space:  global
        .offset:         40
        .size:           8
        .value_kind:     global_buffer
      - .actual_access:  read_only
        .address_space:  global
        .offset:         48
        .size:           8
        .value_kind:     global_buffer
      - .offset:         56
        .size:           4
        .value_kind:     by_value
      - .actual_access:  read_only
        .address_space:  global
        .offset:         64
        .size:           8
        .value_kind:     global_buffer
      - .actual_access:  read_only
        .address_space:  global
        .offset:         72
        .size:           8
        .value_kind:     global_buffer
      - .address_space:  global
        .offset:         80
        .size:           8
        .value_kind:     global_buffer
    .group_segment_fixed_size: 0
    .kernarg_segment_align: 8
    .kernarg_segment_size: 88
    .language:       OpenCL C
    .language_version:
      - 2
      - 0
    .max_flat_workgroup_size: 243
    .name:           fft_rtc_back_len1944_factors_3_3_3_3_8_3_wgs_243_tpt_243_halfLds_dp_ip_CI_unitstride_sbrr_R2C_dirReg
    .private_segment_fixed_size: 0
    .sgpr_count:     23
    .sgpr_spill_count: 0
    .symbol:         fft_rtc_back_len1944_factors_3_3_3_3_8_3_wgs_243_tpt_243_halfLds_dp_ip_CI_unitstride_sbrr_R2C_dirReg.kd
    .uniform_work_group_size: 1
    .uses_dynamic_stack: false
    .vgpr_count:     81
    .vgpr_spill_count: 0
    .wavefront_size: 32
    .workgroup_processor_mode: 1
amdhsa.target:   amdgcn-amd-amdhsa--gfx1030
amdhsa.version:
  - 1
  - 2
...

	.end_amdgpu_metadata
